;; amdgpu-corpus repo=ROCm/rocFFT kind=compiled arch=gfx906 opt=O3
	.text
	.amdgcn_target "amdgcn-amd-amdhsa--gfx906"
	.amdhsa_code_object_version 6
	.protected	fft_rtc_fwd_len200_factors_8_5_5_wgs_400_tpt_40_half_op_CI_CI_sbrc_xy_z_unaligned ; -- Begin function fft_rtc_fwd_len200_factors_8_5_5_wgs_400_tpt_40_half_op_CI_CI_sbrc_xy_z_unaligned
	.globl	fft_rtc_fwd_len200_factors_8_5_5_wgs_400_tpt_40_half_op_CI_CI_sbrc_xy_z_unaligned
	.p2align	8
	.type	fft_rtc_fwd_len200_factors_8_5_5_wgs_400_tpt_40_half_op_CI_CI_sbrc_xy_z_unaligned,@function
fft_rtc_fwd_len200_factors_8_5_5_wgs_400_tpt_40_half_op_CI_CI_sbrc_xy_z_unaligned: ; @fft_rtc_fwd_len200_factors_8_5_5_wgs_400_tpt_40_half_op_CI_CI_sbrc_xy_z_unaligned
; %bb.0:
	s_load_dwordx4 s[8:11], s[4:5], 0x10
	s_load_dwordx2 s[16:17], s[4:5], 0x20
	s_mov_b32 s7, 0
	s_mov_b32 s19, s7
	s_waitcnt lgkmcnt(0)
	s_load_dwordx4 s[0:3], s[8:9], 0x8
	s_load_dwordx4 s[12:15], s[10:11], 0x0
	s_load_dwordx2 s[20:21], s[10:11], 0x10
	s_waitcnt lgkmcnt(0)
	s_add_i32 s3, s2, -1
	s_mul_hi_u32 s3, s3, 0xcccccccd
	s_lshr_b32 s3, s3, 3
	s_add_i32 s3, s3, 1
	s_mul_i32 s8, s3, s0
	v_cvt_f32_u32_e32 v1, s8
	s_sub_i32 s3, 0, s8
	v_rcp_iflag_f32_e32 v1, v1
	v_mul_f32_e32 v1, 0x4f7ffffe, v1
	v_cvt_u32_f32_e32 v3, v1
	v_mov_b32_e32 v2, s1
	v_mov_b32_e32 v1, s0
	v_readfirstlane_b32 s9, v3
	s_mul_i32 s3, s3, s9
	s_mul_hi_u32 s3, s9, s3
	s_add_i32 s9, s9, s3
	s_mul_hi_u32 s3, s6, s9
	s_mul_i32 s9, s3, s8
	s_sub_i32 s9, s6, s9
	s_add_i32 s15, s3, 1
	s_sub_i32 s18, s9, s8
	s_cmp_ge_u32 s9, s8
	s_cselect_b32 s3, s15, s3
	s_cselect_b32 s9, s18, s9
	s_add_i32 s15, s3, 1
	s_cmp_ge_u32 s9, s8
	s_cselect_b32 s3, s15, s3
	s_mul_i32 s8, s3, s8
	s_sub_i32 s18, s6, s8
	v_cmp_lt_u64_e32 vcc, s[18:19], v[1:2]
	v_cvt_f32_u32_e32 v1, s0
	s_mov_b64 s[8:9], 0
	s_cbranch_vccnz .LBB0_2
; %bb.1:
	v_rcp_iflag_f32_e32 v2, v1
	s_sub_i32 s8, 0, s0
	v_mul_f32_e32 v2, 0x4f7ffffe, v2
	v_cvt_u32_f32_e32 v2, v2
	v_readfirstlane_b32 s9, v2
	s_mul_i32 s8, s8, s9
	s_mul_hi_u32 s8, s9, s8
	s_add_i32 s9, s9, s8
	s_mul_hi_u32 s8, s18, s9
	s_mul_i32 s15, s8, s0
	s_sub_i32 s15, s18, s15
	s_add_i32 s9, s8, 1
	s_sub_i32 s18, s15, s0
	s_cmp_ge_u32 s15, s0
	s_cselect_b32 s8, s9, s8
	s_cselect_b32 s15, s18, s15
	s_add_i32 s9, s8, 1
	s_cmp_ge_u32 s15, s0
	s_cselect_b32 s8, s9, s8
.LBB0_2:
	s_load_dwordx2 s[22:23], s[4:5], 0x58
	v_mov_b32_e32 v3, s1
	v_mov_b32_e32 v2, s0
	v_cmp_lt_u64_e32 vcc, s[6:7], v[2:3]
	s_cbranch_vccnz .LBB0_4
; %bb.3:
	v_rcp_iflag_f32_e32 v1, v1
	s_sub_i32 s1, 0, s0
	v_mul_f32_e32 v1, 0x4f7ffffe, v1
	v_cvt_u32_f32_e32 v1, v1
	v_readfirstlane_b32 s7, v1
	s_mul_i32 s1, s1, s7
	s_mul_hi_u32 s1, s7, s1
	s_add_i32 s7, s7, s1
	s_mul_hi_u32 s1, s6, s7
	s_mul_i32 s1, s1, s0
	s_sub_i32 s1, s6, s1
	s_sub_i32 s6, s1, s0
	s_cmp_ge_u32 s1, s0
	s_cselect_b32 s1, s6, s1
	s_sub_i32 s6, s1, s0
	s_cmp_ge_u32 s1, s0
	s_cselect_b32 s6, s6, s1
.LBB0_4:
	s_load_dwordx2 s[0:1], s[4:5], 0x8
	s_mul_i32 s7, s8, 10
	s_mul_i32 s9, s6, s14
	s_mul_i32 s8, s7, s20
	s_add_i32 s21, s9, s8
	s_waitcnt lgkmcnt(0)
	s_lshl_b64 s[0:1], s[0:1], 3
	s_add_u32 s18, s10, s0
	s_addc_u32 s19, s11, s1
	s_load_dwordx2 s[24:25], s[18:19], 0x0
	s_load_dwordx4 s[8:11], s[16:17], 0x0
	s_load_dwordx2 s[14:15], s[16:17], 0x10
	v_mul_u32_u24_e32 v1, 0x148, v0
	v_lshrrev_b32_e32 v3, 16, v1
	s_waitcnt lgkmcnt(0)
	s_mul_i32 s11, s25, s3
	s_mul_hi_u32 s15, s24, s3
	s_mul_i32 s18, s24, s3
	s_add_i32 s15, s15, s11
	s_add_u32 s24, s18, s21
	s_addc_u32 s25, s15, 0
	s_add_u32 s0, s16, s0
	s_addc_u32 s1, s17, s1
	s_load_dwordx2 s[0:1], s[0:1], 0x0
	s_add_i32 s11, s7, 10
	s_cmp_le_u32 s11, s2
	s_cselect_b64 s[16:17], -1, 0
	v_mul_lo_u16_e32 v1, 0xc8, v3
	v_sub_u16_e32 v4, v0, v1
	s_mov_b64 s[26:27], -1
	s_and_b64 vcc, exec, s[16:17]
	s_cbranch_vccnz .LBB0_9
; %bb.5:
	v_add_u32_e32 v5, s7, v3
	v_cmp_gt_u32_e32 vcc, s2, v5
	s_and_saveexec_b64 s[18:19], vcc
	s_cbranch_execz .LBB0_8
; %bb.6:
	v_mad_u64_u32 v[1:2], s[26:27], s12, v4, 0
	s_lshl_b64 s[26:27], s[24:25], 2
	s_add_u32 s11, s22, s26
	v_mad_u64_u32 v[6:7], s[28:29], s13, v4, v[2:3]
	s_addc_u32 s15, s23, s27
	v_mov_b32_e32 v7, s15
	v_mov_b32_e32 v2, v6
	v_lshlrev_b64 v[1:2], 2, v[1:2]
	s_lshl_b32 s15, s20, 1
	v_add_co_u32_e32 v6, vcc, s11, v1
	v_addc_co_u32_e32 v7, vcc, v7, v2, vcc
	v_mul_u32_u24_e32 v1, 0x320, v3
	v_lshlrev_b32_e32 v2, 2, v4
	v_add3_u32 v8, v1, v2, 0
	v_mul_lo_u32 v1, v3, s20
	s_mov_b32 s11, 0
	s_mov_b64 s[26:27], 0
	v_mov_b32_e32 v2, 0
.LBB0_7:                                ; =>This Inner Loop Header: Depth=1
	v_lshlrev_b64 v[9:10], 2, v[1:2]
	s_add_i32 s11, s11, 2
	v_add_co_u32_e32 v9, vcc, v6, v9
	v_addc_co_u32_e32 v10, vcc, v7, v10, vcc
	global_load_dword v9, v[9:10], off
	v_add_u32_e32 v10, s11, v5
	v_cmp_le_u32_e32 vcc, s2, v10
	v_add_u32_e32 v1, s15, v1
	s_or_b64 s[26:27], vcc, s[26:27]
	s_waitcnt vmcnt(0)
	ds_write_b32 v8, v9
	v_add_u32_e32 v8, 0x640, v8
	s_andn2_b64 exec, exec, s[26:27]
	s_cbranch_execnz .LBB0_7
.LBB0_8:
	s_or_b64 exec, exec, s[18:19]
	s_mov_b64 s[26:27], 0
.LBB0_9:
	s_load_dwordx2 s[18:19], s[4:5], 0x0
	s_andn2_b64 vcc, exec, s[26:27]
	s_cbranch_vccnz .LBB0_11
; %bb.10:
	v_mad_u64_u32 v[1:2], s[26:27], s12, v4, 0
	v_mul_lo_u32 v5, s20, v3
	v_mov_b32_e32 v6, 0
	v_mad_u64_u32 v[7:8], s[12:13], s13, v4, v[2:3]
	s_lshl_b64 s[12:13], s[24:25], 2
	s_add_u32 s11, s22, s12
	v_mov_b32_e32 v2, v7
	v_lshlrev_b64 v[1:2], 2, v[1:2]
	s_addc_u32 s12, s23, s13
	v_mov_b32_e32 v7, s12
	v_add_co_u32_e32 v13, vcc, s11, v1
	v_addc_co_u32_e32 v14, vcc, v7, v2, vcc
	v_lshlrev_b64 v[1:2], 2, v[5:6]
	s_lshl_b32 s11, s20, 1
	v_add_u32_e32 v5, s11, v5
	v_add_co_u32_e32 v1, vcc, v13, v1
	v_lshlrev_b64 v[7:8], 2, v[5:6]
	v_addc_co_u32_e32 v2, vcc, v14, v2, vcc
	v_add_u32_e32 v5, s11, v5
	v_add_co_u32_e32 v7, vcc, v13, v7
	v_lshlrev_b64 v[9:10], 2, v[5:6]
	v_addc_co_u32_e32 v8, vcc, v14, v8, vcc
	;; [unrolled: 4-line block ×4, first 2 shown]
	v_add_co_u32_e32 v5, vcc, v13, v5
	v_addc_co_u32_e32 v6, vcc, v14, v6, vcc
	global_load_dword v13, v[1:2], off
	global_load_dword v14, v[7:8], off
	;; [unrolled: 1-line block ×5, first 2 shown]
	v_mul_u32_u24_e32 v1, 0x320, v3
	v_lshlrev_b32_e32 v2, 2, v4
	v_add3_u32 v1, 0, v1, v2
	s_waitcnt vmcnt(4)
	ds_write_b32 v1, v13
	s_waitcnt vmcnt(3)
	ds_write_b32 v1, v14 offset:1600
	s_waitcnt vmcnt(2)
	ds_write_b32 v1, v15 offset:3200
	;; [unrolled: 2-line block ×4, first 2 shown]
.LBB0_11:
	s_movk_i32 s11, 0x667
	v_mul_u32_u24_sdwa v1, v0, s11 dst_sel:DWORD dst_unused:UNUSED_PAD src0_sel:WORD_0 src1_sel:DWORD
	v_add_u32_sdwa v1, s7, v1 dst_sel:DWORD dst_unused:UNUSED_PAD src0_sel:DWORD src1_sel:WORD_1
	s_mov_b32 s11, 0xcccccccd
	v_mul_hi_u32 v2, v1, s11
	s_mov_b32 s11, 0x6666667
	v_mul_hi_u32 v3, v0, s11
	s_waitcnt lgkmcnt(0)
	v_lshrrev_b32_e32 v2, 3, v2
	v_mul_lo_u32 v2, v2, 10
	v_mul_u32_u24_e32 v3, 40, v3
	v_sub_u32_e32 v10, v0, v3
	s_barrier
	v_sub_u32_e32 v1, v1, v2
	v_mul_u32_u24_e32 v1, 0xc8, v1
	v_lshlrev_b32_e32 v11, 2, v1
	v_lshlrev_b32_e32 v1, 2, v10
	v_add_u32_e32 v12, 0, v1
	v_add_u32_e32 v8, v12, v11
	v_add3_u32 v9, 0, v11, v1
	ds_read2_b32 v[4:5], v8 offset0:25 offset1:50
	ds_read2_b32 v[2:3], v8 offset0:75 offset1:100
	;; [unrolled: 1-line block ×3, first 2 shown]
	ds_read_b32 v13, v9
	ds_read_b32 v14, v8 offset:700
	v_cmp_gt_u32_e32 vcc, 25, v10
	s_waitcnt lgkmcnt(0)
	s_barrier
	s_and_saveexec_b64 s[12:13], vcc
	s_cbranch_execz .LBB0_13
; %bb.12:
	v_pk_add_f16 v3, v13, v3 neg_lo:[0,1] neg_hi:[0,1]
	v_pk_add_f16 v6, v4, v6 neg_lo:[0,1] neg_hi:[0,1]
	;; [unrolled: 1-line block ×4, first 2 shown]
	v_lshrrev_b32_e32 v17, 16, v6
	v_lshrrev_b32_e32 v19, 16, v3
	v_sub_f16_sdwa v15, v3, v7 dst_sel:DWORD dst_unused:UNUSED_PAD src0_sel:DWORD src1_sel:WORD_1
	s_movk_i32 s11, 0x39a8
	v_add_f16_e32 v18, v17, v14
	v_pk_fma_f16 v5, v5, 2.0, v7 op_sel_hi:[1,0,1] neg_lo:[0,0,1] neg_hi:[0,0,1]
	v_add_f16_e32 v7, v19, v7
	v_sub_f16_sdwa v16, v6, v14 dst_sel:DWORD dst_unused:UNUSED_PAD src0_sel:DWORD src1_sel:WORD_1
	v_fma_f16 v20, v18, s11, v7
	v_pk_fma_f16 v4, v4, 2.0, v6 op_sel_hi:[1,0,1] neg_lo:[0,0,1] neg_hi:[0,0,1]
	v_fma_f16 v20, v16, s11, v20
	v_fma_f16 v6, v6, 2.0, -v16
	v_fma_f16 v16, v16, s11, v15
	s_mov_b32 s15, 0xb9a8
	v_fma_f16 v16, v18, s15, v16
	v_fma_f16 v17, v17, 2.0, -v18
	v_fma_f16 v18, v3, 2.0, -v15
	v_fma_f16 v21, v6, s15, v18
	v_fma_f16 v19, v19, 2.0, -v7
	v_pk_fma_f16 v3, v13, 2.0, v3 op_sel_hi:[1,0,1] neg_lo:[0,0,1] neg_hi:[0,0,1]
	v_pk_fma_f16 v2, v2, 2.0, v14 op_sel_hi:[1,0,1] neg_lo:[0,0,1] neg_hi:[0,0,1]
	v_fma_f16 v21, v17, s15, v21
	v_fma_f16 v17, v17, s15, v19
	v_pk_add_f16 v5, v3, v5 neg_lo:[0,1] neg_hi:[0,1]
	v_pk_add_f16 v2, v4, v2 neg_lo:[0,1] neg_hi:[0,1]
	v_fma_f16 v6, v6, s11, v17
	v_mul_u32_u24_e32 v17, 28, v10
	v_fma_f16 v13, v15, 2.0, -v16
	v_fma_f16 v15, v18, 2.0, -v21
	v_lshrrev_b32_e32 v18, 16, v5
	v_pk_fma_f16 v4, v4, 2.0, v2 op_sel_hi:[1,0,1] neg_lo:[0,0,1] neg_hi:[0,0,1]
	v_pk_fma_f16 v3, v3, 2.0, v5 op_sel_hi:[1,0,1] neg_lo:[0,0,1] neg_hi:[0,0,1]
	v_add3_u32 v12, v12, v17, v11
	v_fma_f16 v17, v19, 2.0, -v6
	v_sub_f16_sdwa v14, v5, v2 dst_sel:DWORD dst_unused:UNUSED_PAD src0_sel:DWORD src1_sel:WORD_1
	v_add_f16_e32 v2, v18, v2
	v_pk_add_f16 v4, v3, v4 neg_lo:[0,1] neg_hi:[0,1]
	v_fma_f16 v7, v7, 2.0, -v20
	v_fma_f16 v5, v5, 2.0, -v14
	;; [unrolled: 1-line block ×3, first 2 shown]
	v_pk_fma_f16 v3, v3, 2.0, v4 op_sel_hi:[1,0,1] neg_lo:[0,0,1] neg_hi:[0,0,1]
	v_pack_b32_f16 v15, v15, v17
	ds_write2_b32 v12, v3, v15 offset1:1
	v_pack_b32_f16 v3, v13, v7
	v_pack_b32_f16 v5, v5, v18
	ds_write2_b32 v12, v5, v3 offset0:2 offset1:3
	v_pack_b32_f16 v3, v21, v6
	ds_write2_b32 v12, v4, v3 offset0:4 offset1:5
	v_pack_b32_f16 v3, v16, v20
	v_pack_b32_f16 v2, v14, v2
	ds_write2_b32 v12, v2, v3 offset0:6 offset1:7
.LBB0_13:
	s_or_b64 exec, exec, s[12:13]
	v_and_b32_e32 v14, 7, v10
	v_lshlrev_b32_e32 v2, 4, v14
	s_waitcnt lgkmcnt(0)
	s_barrier
	global_load_dwordx4 v[2:5], v2, s[18:19]
	ds_read2_b32 v[6:7], v8 offset0:40 offset1:80
	ds_read2_b32 v[12:13], v8 offset0:120 offset1:160
	s_movk_i32 s11, 0x3b9c
	s_mov_b32 s13, 0xbb9c
	s_movk_i32 s12, 0x38b4
	s_waitcnt lgkmcnt(1)
	v_lshrrev_b32_e32 v15, 16, v6
	v_lshrrev_b32_e32 v16, 16, v7
	s_waitcnt lgkmcnt(0)
	v_lshrrev_b32_e32 v17, 16, v12
	v_lshrrev_b32_e32 v18, 16, v13
	s_mov_b32 s15, 0xb8b4
	v_lshrrev_b32_e32 v10, 3, v10
	v_mul_u32_u24_e32 v10, 40, v10
	s_movk_i32 s20, 0x34f2
	v_or_b32_e32 v10, v10, v14
	v_lshlrev_b32_e32 v10, 2, v10
	v_add3_u32 v10, 0, v10, v11
	s_waitcnt vmcnt(0)
	v_mul_f16_sdwa v19, v2, v15 dst_sel:DWORD dst_unused:UNUSED_PAD src0_sel:WORD_1 src1_sel:DWORD
	v_mul_f16_sdwa v20, v2, v6 dst_sel:DWORD dst_unused:UNUSED_PAD src0_sel:WORD_1 src1_sel:DWORD
	v_mul_f16_sdwa v21, v3, v16 dst_sel:DWORD dst_unused:UNUSED_PAD src0_sel:WORD_1 src1_sel:DWORD
	v_mul_f16_sdwa v22, v3, v7 dst_sel:DWORD dst_unused:UNUSED_PAD src0_sel:WORD_1 src1_sel:DWORD
	v_fma_f16 v6, v2, v6, -v19
	v_mul_f16_sdwa v19, v4, v17 dst_sel:DWORD dst_unused:UNUSED_PAD src0_sel:WORD_1 src1_sel:DWORD
	v_fma_f16 v2, v2, v15, v20
	v_mul_f16_sdwa v15, v5, v18 dst_sel:DWORD dst_unused:UNUSED_PAD src0_sel:WORD_1 src1_sel:DWORD
	v_fma_f16 v7, v3, v7, -v21
	v_mul_f16_sdwa v21, v4, v12 dst_sel:DWORD dst_unused:UNUSED_PAD src0_sel:WORD_1 src1_sel:DWORD
	v_fma_f16 v3, v3, v16, v22
	v_mul_f16_sdwa v16, v5, v13 dst_sel:DWORD dst_unused:UNUSED_PAD src0_sel:WORD_1 src1_sel:DWORD
	v_fma_f16 v12, v4, v12, -v19
	v_fma_f16 v13, v5, v13, -v15
	ds_read_b32 v15, v9
	ds_read_u16 v19, v9 offset:2
	v_fma_f16 v4, v4, v17, v21
	v_fma_f16 v5, v5, v18, v16
	v_sub_f16_e32 v17, v6, v7
	v_sub_f16_e32 v18, v13, v12
	;; [unrolled: 1-line block ×5, first 2 shown]
	v_add_f16_e32 v17, v17, v18
	v_sub_f16_e32 v18, v5, v4
	v_add_f16_e32 v20, v20, v21
	v_sub_f16_e32 v21, v3, v2
	;; [unrolled: 2-line block ×3, first 2 shown]
	v_add_f16_e32 v16, v7, v12
	v_add_f16_e32 v21, v21, v22
	;; [unrolled: 1-line block ×3, first 2 shown]
	s_waitcnt lgkmcnt(1)
	v_fma_f16 v16, v16, -0.5, v15
	v_fma_f16 v22, v22, -0.5, v15
	v_add_f16_e32 v15, v6, v15
	v_add_f16_e32 v15, v15, v7
	v_sub_f16_e32 v7, v7, v12
	v_add_f16_e32 v12, v15, v12
	v_add_f16_e32 v15, v3, v4
	;; [unrolled: 1-line block ×3, first 2 shown]
	s_waitcnt lgkmcnt(0)
	v_fma_f16 v15, v15, -0.5, v19
	v_fma_f16 v23, v23, -0.5, v19
	v_add_f16_e32 v19, v19, v2
	v_add_f16_e32 v19, v19, v3
	v_sub_f16_e32 v3, v3, v4
	v_sub_f16_e32 v2, v2, v5
	v_add_f16_e32 v4, v19, v4
	v_sub_f16_e32 v6, v6, v13
	v_add_f16_e32 v12, v12, v13
	v_fma_f16 v13, v2, s11, v16
	v_fma_f16 v16, v2, s13, v16
	;; [unrolled: 1-line block ×10, first 2 shown]
	v_add_f16_e32 v4, v4, v5
	v_fma_f16 v5, v7, s11, v23
	v_fma_f16 v22, v7, s13, v23
	;; [unrolled: 1-line block ×12, first 2 shown]
	v_pack_b32_f16 v4, v12, v4
	v_pack_b32_f16 v11, v13, v16
	v_fma_f16 v3, v17, s20, v3
	v_fma_f16 v7, v18, s20, v7
	s_barrier
	ds_write2_b32 v10, v4, v11 offset1:8
	v_pack_b32_f16 v4, v15, v5
	v_pack_b32_f16 v2, v2, v6
	ds_write2_b32 v10, v4, v2 offset0:16 offset1:24
	v_pack_b32_f16 v2, v3, v7
	ds_write_b32 v10, v2 offset:128
	v_mov_b32_e32 v2, 0
	v_lshlrev_b64 v[3:4], 2, v[1:2]
	v_mov_b32_e32 v1, s19
	v_add_co_u32_e32 v3, vcc, s18, v3
	v_addc_co_u32_e32 v4, vcc, v1, v4, vcc
	s_waitcnt lgkmcnt(0)
	s_barrier
	global_load_dwordx4 v[3:6], v[3:4], off offset:128
	ds_read2_b32 v[10:11], v8 offset0:40 offset1:80
	ds_read2_b32 v[12:13], v8 offset0:120 offset1:160
	ds_read_b32 v1, v9
	ds_read_u16 v7, v9 offset:2
	s_waitcnt lgkmcnt(0)
	v_lshrrev_b32_e32 v9, 16, v10
	v_lshrrev_b32_e32 v14, 16, v11
	;; [unrolled: 1-line block ×4, first 2 shown]
	s_waitcnt vmcnt(0)
	s_barrier
	v_mul_f16_sdwa v17, v3, v9 dst_sel:DWORD dst_unused:UNUSED_PAD src0_sel:WORD_1 src1_sel:DWORD
	v_mul_f16_sdwa v18, v3, v10 dst_sel:DWORD dst_unused:UNUSED_PAD src0_sel:WORD_1 src1_sel:DWORD
	v_mul_f16_sdwa v19, v4, v14 dst_sel:DWORD dst_unused:UNUSED_PAD src0_sel:WORD_1 src1_sel:DWORD
	v_mul_f16_sdwa v21, v5, v15 dst_sel:DWORD dst_unused:UNUSED_PAD src0_sel:WORD_1 src1_sel:DWORD
	v_mul_f16_sdwa v20, v4, v11 dst_sel:DWORD dst_unused:UNUSED_PAD src0_sel:WORD_1 src1_sel:DWORD
	v_fma_f16 v10, v3, v10, -v17
	v_fma_f16 v11, v4, v11, -v19
	v_mul_f16_sdwa v17, v6, v16 dst_sel:DWORD dst_unused:UNUSED_PAD src0_sel:WORD_1 src1_sel:DWORD
	v_mul_f16_sdwa v19, v6, v13 dst_sel:DWORD dst_unused:UNUSED_PAD src0_sel:WORD_1 src1_sel:DWORD
	v_fma_f16 v3, v3, v9, v18
	v_fma_f16 v9, v5, v12, -v21
	v_mul_f16_sdwa v22, v5, v12 dst_sel:DWORD dst_unused:UNUSED_PAD src0_sel:WORD_1 src1_sel:DWORD
	v_fma_f16 v4, v4, v14, v20
	v_fma_f16 v12, v6, v13, -v17
	v_fma_f16 v6, v6, v16, v19
	v_add_f16_e32 v13, v10, v1
	v_add_f16_e32 v14, v11, v9
	v_fma_f16 v5, v5, v15, v22
	v_sub_f16_e32 v15, v3, v6
	v_sub_f16_e32 v17, v10, v11
	;; [unrolled: 1-line block ×3, first 2 shown]
	v_add_f16_e32 v19, v10, v12
	v_sub_f16_e32 v20, v11, v10
	v_sub_f16_e32 v21, v9, v12
	v_add_f16_e32 v13, v13, v11
	v_fma_f16 v14, v14, -0.5, v1
	v_sub_f16_e32 v16, v4, v5
	v_add_f16_e32 v22, v7, v3
	v_add_f16_e32 v17, v17, v18
	;; [unrolled: 1-line block ×3, first 2 shown]
	v_fma_f16 v1, v19, -0.5, v1
	v_add_f16_e32 v19, v20, v21
	v_add_f16_e32 v13, v13, v9
	v_fma_f16 v21, v15, s11, v14
	v_fma_f16 v14, v15, s13, v14
	v_sub_f16_e32 v10, v10, v12
	v_add_f16_e32 v20, v22, v4
	v_fma_f16 v18, v18, -0.5, v7
	v_fma_f16 v22, v16, s13, v1
	v_fma_f16 v1, v16, s11, v1
	v_add_f16_e32 v12, v13, v12
	v_fma_f16 v13, v16, s12, v21
	v_fma_f16 v14, v16, s15, v14
	;; [unrolled: 1-line block ×7, first 2 shown]
	v_sub_f16_e32 v9, v11, v9
	v_fma_f16 v16, v19, s20, v16
	v_fma_f16 v1, v19, s20, v1
	;; [unrolled: 1-line block ×3, first 2 shown]
	v_sub_f16_e32 v17, v3, v4
	v_sub_f16_e32 v19, v6, v5
	v_fma_f16 v18, v10, s11, v18
	v_add_f16_e32 v17, v17, v19
	v_fma_f16 v18, v9, s12, v18
	v_fma_f16 v11, v17, s20, v11
	;; [unrolled: 1-line block ×3, first 2 shown]
	v_add_f16_e32 v18, v3, v6
	v_fma_f16 v7, v18, -0.5, v7
	v_add_f16_e32 v20, v20, v5
	v_fma_f16 v18, v9, s11, v7
	v_sub_f16_e32 v3, v4, v3
	v_sub_f16_e32 v4, v5, v6
	v_fma_f16 v5, v9, s13, v7
	v_fma_f16 v18, v10, s15, v18
	v_add_f16_e32 v3, v3, v4
	v_fma_f16 v5, v10, s12, v5
	v_fma_f16 v4, v3, s20, v18
	;; [unrolled: 1-line block ×3, first 2 shown]
	s_mov_b32 s11, 0x1999999a
	v_pack_b32_f16 v1, v1, v3
	v_mul_hi_u32 v3, v0, s11
	v_pack_b32_f16 v4, v16, v4
	ds_write2_b32 v8, v4, v1 offset0:80 offset1:120
	v_pack_b32_f16 v1, v14, v17
	ds_write_b32 v8, v1 offset:640
	v_mul_u32_u24_e32 v1, 10, v3
	v_sub_u32_e32 v0, v0, v1
	v_add_u32_e32 v1, s7, v0
	v_add_f16_e32 v15, v20, v6
	v_cmp_gt_u32_e32 vcc, s2, v1
	v_pack_b32_f16 v5, v12, v15
	v_pack_b32_f16 v6, v13, v11
	s_or_b64 s[12:13], s[16:17], vcc
	ds_write2_b32 v8, v5, v6 offset1:40
	s_waitcnt lgkmcnt(0)
	s_barrier
	s_and_saveexec_b64 s[16:17], s[12:13]
	s_cbranch_execz .LBB0_15
; %bb.14:
	s_load_dwordx2 s[4:5], s[4:5], 0x60
	s_mul_i32 s12, s6, s14
	v_mad_u64_u32 v[4:5], s[14:15], s8, v0, 0
	s_mul_i32 s2, s9, s7
	s_mul_hi_u32 s6, s8, s7
	s_add_i32 s15, s6, s2
	s_mul_i32 s14, s8, s7
	s_mul_i32 s1, s1, s3
	s_mul_hi_u32 s2, s0, s3
	v_mov_b32_e32 v1, v5
	s_add_i32 s1, s2, s1
	s_mul_i32 s0, s0, s3
	s_lshl_b64 s[2:3], s[14:15], 2
	s_mov_b32 s13, 0
	v_mad_u64_u32 v[5:6], s[6:7], s9, v0, v[1:2]
	s_waitcnt lgkmcnt(0)
	s_add_u32 s4, s4, s2
	s_addc_u32 s5, s5, s3
	s_lshl_b64 s[2:3], s[12:13], 2
	s_add_u32 s2, s4, s2
	v_mul_lo_u32 v1, v3, s10
	v_mul_i32_i24_e32 v0, 0x320, v0
	v_lshlrev_b32_e32 v3, 2, v3
	s_addc_u32 s3, s5, s3
	s_lshl_b64 s[0:1], s[0:1], 2
	v_add3_u32 v0, 0, v0, v3
	s_add_u32 s0, s2, s0
	v_lshlrev_b64 v[3:4], 2, v[4:5]
	s_addc_u32 s1, s3, s1
	ds_read2_b32 v[6:7], v0 offset1:40
	v_mov_b32_e32 v5, s1
	v_add_co_u32_e32 v8, vcc, s0, v3
	v_addc_co_u32_e32 v9, vcc, v5, v4, vcc
	v_lshlrev_b64 v[3:4], 2, v[1:2]
	s_mul_i32 s0, s10, 40
	v_add_co_u32_e32 v3, vcc, v8, v3
	v_addc_co_u32_e32 v4, vcc, v9, v4, vcc
	v_add_u32_e32 v1, s0, v1
	s_waitcnt lgkmcnt(0)
	global_store_dword v[3:4], v6, off
	v_lshlrev_b64 v[3:4], 2, v[1:2]
	v_add_u32_e32 v1, s0, v1
	v_add_co_u32_e32 v3, vcc, v8, v3
	v_addc_co_u32_e32 v4, vcc, v9, v4, vcc
	global_store_dword v[3:4], v7, off
	ds_read2_b32 v[3:4], v0 offset0:80 offset1:120
	v_lshlrev_b64 v[5:6], 2, v[1:2]
	v_add_u32_e32 v1, s0, v1
	v_add_co_u32_e32 v5, vcc, v8, v5
	v_addc_co_u32_e32 v6, vcc, v9, v6, vcc
	s_waitcnt lgkmcnt(0)
	global_store_dword v[5:6], v3, off
	v_lshlrev_b64 v[5:6], 2, v[1:2]
	v_add_u32_e32 v1, s0, v1
	ds_read_b32 v3, v0 offset:640
	v_add_co_u32_e32 v5, vcc, v8, v5
	v_lshlrev_b64 v[0:1], 2, v[1:2]
	v_addc_co_u32_e32 v6, vcc, v9, v6, vcc
	v_add_co_u32_e32 v0, vcc, v8, v0
	v_addc_co_u32_e32 v1, vcc, v9, v1, vcc
	global_store_dword v[5:6], v4, off
	s_waitcnt lgkmcnt(0)
	global_store_dword v[0:1], v3, off
.LBB0_15:
	s_endpgm
	.section	.rodata,"a",@progbits
	.p2align	6, 0x0
	.amdhsa_kernel fft_rtc_fwd_len200_factors_8_5_5_wgs_400_tpt_40_half_op_CI_CI_sbrc_xy_z_unaligned
		.amdhsa_group_segment_fixed_size 0
		.amdhsa_private_segment_fixed_size 0
		.amdhsa_kernarg_size 104
		.amdhsa_user_sgpr_count 6
		.amdhsa_user_sgpr_private_segment_buffer 1
		.amdhsa_user_sgpr_dispatch_ptr 0
		.amdhsa_user_sgpr_queue_ptr 0
		.amdhsa_user_sgpr_kernarg_segment_ptr 1
		.amdhsa_user_sgpr_dispatch_id 0
		.amdhsa_user_sgpr_flat_scratch_init 0
		.amdhsa_user_sgpr_private_segment_size 0
		.amdhsa_uses_dynamic_stack 0
		.amdhsa_system_sgpr_private_segment_wavefront_offset 0
		.amdhsa_system_sgpr_workgroup_id_x 1
		.amdhsa_system_sgpr_workgroup_id_y 0
		.amdhsa_system_sgpr_workgroup_id_z 0
		.amdhsa_system_sgpr_workgroup_info 0
		.amdhsa_system_vgpr_workitem_id 0
		.amdhsa_next_free_vgpr 24
		.amdhsa_next_free_sgpr 30
		.amdhsa_reserve_vcc 1
		.amdhsa_reserve_flat_scratch 0
		.amdhsa_float_round_mode_32 0
		.amdhsa_float_round_mode_16_64 0
		.amdhsa_float_denorm_mode_32 3
		.amdhsa_float_denorm_mode_16_64 3
		.amdhsa_dx10_clamp 1
		.amdhsa_ieee_mode 1
		.amdhsa_fp16_overflow 0
		.amdhsa_exception_fp_ieee_invalid_op 0
		.amdhsa_exception_fp_denorm_src 0
		.amdhsa_exception_fp_ieee_div_zero 0
		.amdhsa_exception_fp_ieee_overflow 0
		.amdhsa_exception_fp_ieee_underflow 0
		.amdhsa_exception_fp_ieee_inexact 0
		.amdhsa_exception_int_div_zero 0
	.end_amdhsa_kernel
	.text
.Lfunc_end0:
	.size	fft_rtc_fwd_len200_factors_8_5_5_wgs_400_tpt_40_half_op_CI_CI_sbrc_xy_z_unaligned, .Lfunc_end0-fft_rtc_fwd_len200_factors_8_5_5_wgs_400_tpt_40_half_op_CI_CI_sbrc_xy_z_unaligned
                                        ; -- End function
	.section	.AMDGPU.csdata,"",@progbits
; Kernel info:
; codeLenInByte = 3300
; NumSgprs: 34
; NumVgprs: 24
; ScratchSize: 0
; MemoryBound: 0
; FloatMode: 240
; IeeeMode: 1
; LDSByteSize: 0 bytes/workgroup (compile time only)
; SGPRBlocks: 4
; VGPRBlocks: 5
; NumSGPRsForWavesPerEU: 34
; NumVGPRsForWavesPerEU: 24
; Occupancy: 9
; WaveLimiterHint : 1
; COMPUTE_PGM_RSRC2:SCRATCH_EN: 0
; COMPUTE_PGM_RSRC2:USER_SGPR: 6
; COMPUTE_PGM_RSRC2:TRAP_HANDLER: 0
; COMPUTE_PGM_RSRC2:TGID_X_EN: 1
; COMPUTE_PGM_RSRC2:TGID_Y_EN: 0
; COMPUTE_PGM_RSRC2:TGID_Z_EN: 0
; COMPUTE_PGM_RSRC2:TIDIG_COMP_CNT: 0
	.type	__hip_cuid_57ce55d71959dbb,@object ; @__hip_cuid_57ce55d71959dbb
	.section	.bss,"aw",@nobits
	.globl	__hip_cuid_57ce55d71959dbb
__hip_cuid_57ce55d71959dbb:
	.byte	0                               ; 0x0
	.size	__hip_cuid_57ce55d71959dbb, 1

	.ident	"AMD clang version 19.0.0git (https://github.com/RadeonOpenCompute/llvm-project roc-6.4.0 25133 c7fe45cf4b819c5991fe208aaa96edf142730f1d)"
	.section	".note.GNU-stack","",@progbits
	.addrsig
	.addrsig_sym __hip_cuid_57ce55d71959dbb
	.amdgpu_metadata
---
amdhsa.kernels:
  - .args:
      - .actual_access:  read_only
        .address_space:  global
        .offset:         0
        .size:           8
        .value_kind:     global_buffer
      - .offset:         8
        .size:           8
        .value_kind:     by_value
      - .actual_access:  read_only
        .address_space:  global
        .offset:         16
        .size:           8
        .value_kind:     global_buffer
      - .actual_access:  read_only
        .address_space:  global
        .offset:         24
        .size:           8
        .value_kind:     global_buffer
      - .actual_access:  read_only
        .address_space:  global
        .offset:         32
        .size:           8
        .value_kind:     global_buffer
      - .offset:         40
        .size:           8
        .value_kind:     by_value
      - .actual_access:  read_only
        .address_space:  global
        .offset:         48
        .size:           8
        .value_kind:     global_buffer
      - .actual_access:  read_only
        .address_space:  global
        .offset:         56
        .size:           8
        .value_kind:     global_buffer
      - .offset:         64
        .size:           4
        .value_kind:     by_value
      - .actual_access:  read_only
        .address_space:  global
        .offset:         72
        .size:           8
        .value_kind:     global_buffer
      - .actual_access:  read_only
        .address_space:  global
        .offset:         80
        .size:           8
        .value_kind:     global_buffer
      - .actual_access:  read_only
        .address_space:  global
        .offset:         88
        .size:           8
        .value_kind:     global_buffer
      - .actual_access:  write_only
        .address_space:  global
        .offset:         96
        .size:           8
        .value_kind:     global_buffer
    .group_segment_fixed_size: 0
    .kernarg_segment_align: 8
    .kernarg_segment_size: 104
    .language:       OpenCL C
    .language_version:
      - 2
      - 0
    .max_flat_workgroup_size: 400
    .name:           fft_rtc_fwd_len200_factors_8_5_5_wgs_400_tpt_40_half_op_CI_CI_sbrc_xy_z_unaligned
    .private_segment_fixed_size: 0
    .sgpr_count:     34
    .sgpr_spill_count: 0
    .symbol:         fft_rtc_fwd_len200_factors_8_5_5_wgs_400_tpt_40_half_op_CI_CI_sbrc_xy_z_unaligned.kd
    .uniform_work_group_size: 1
    .uses_dynamic_stack: false
    .vgpr_count:     24
    .vgpr_spill_count: 0
    .wavefront_size: 64
amdhsa.target:   amdgcn-amd-amdhsa--gfx906
amdhsa.version:
  - 1
  - 2
...

	.end_amdgpu_metadata
